;; amdgpu-corpus repo=ROCm/rocFFT kind=compiled arch=gfx1030 opt=O3
	.text
	.amdgcn_target "amdgcn-amd-amdhsa--gfx1030"
	.amdhsa_code_object_version 6
	.protected	fft_rtc_fwd_len980_factors_7_5_7_4_wgs_196_tpt_196_dp_ip_CI_unitstride_sbrr_C2R_dirReg ; -- Begin function fft_rtc_fwd_len980_factors_7_5_7_4_wgs_196_tpt_196_dp_ip_CI_unitstride_sbrr_C2R_dirReg
	.globl	fft_rtc_fwd_len980_factors_7_5_7_4_wgs_196_tpt_196_dp_ip_CI_unitstride_sbrr_C2R_dirReg
	.p2align	8
	.type	fft_rtc_fwd_len980_factors_7_5_7_4_wgs_196_tpt_196_dp_ip_CI_unitstride_sbrr_C2R_dirReg,@function
fft_rtc_fwd_len980_factors_7_5_7_4_wgs_196_tpt_196_dp_ip_CI_unitstride_sbrr_C2R_dirReg: ; @fft_rtc_fwd_len980_factors_7_5_7_4_wgs_196_tpt_196_dp_ip_CI_unitstride_sbrr_C2R_dirReg
; %bb.0:
	s_clause 0x2
	s_load_dwordx4 s[8:11], s[4:5], 0x0
	s_load_dwordx2 s[2:3], s[4:5], 0x50
	s_load_dwordx2 s[12:13], s[4:5], 0x18
	v_mul_u32_u24_e32 v1, 0x14f, v0
	v_mov_b32_e32 v3, 0
	v_add_nc_u32_sdwa v5, s6, v1 dst_sel:DWORD dst_unused:UNUSED_PAD src0_sel:DWORD src1_sel:WORD_1
	v_mov_b32_e32 v1, 0
	v_mov_b32_e32 v6, v3
	v_mov_b32_e32 v2, 0
	s_waitcnt lgkmcnt(0)
	v_cmp_lt_u64_e64 s0, s[10:11], 2
	s_and_b32 vcc_lo, exec_lo, s0
	s_cbranch_vccnz .LBB0_8
; %bb.1:
	s_load_dwordx2 s[0:1], s[4:5], 0x10
	v_mov_b32_e32 v1, 0
	s_add_u32 s6, s12, 8
	v_mov_b32_e32 v2, 0
	s_addc_u32 s7, s13, 0
	s_mov_b64 s[16:17], 1
	s_waitcnt lgkmcnt(0)
	s_add_u32 s14, s0, 8
	s_addc_u32 s15, s1, 0
.LBB0_2:                                ; =>This Inner Loop Header: Depth=1
	s_load_dwordx2 s[18:19], s[14:15], 0x0
                                        ; implicit-def: $vgpr7_vgpr8
	s_mov_b32 s0, exec_lo
	s_waitcnt lgkmcnt(0)
	v_or_b32_e32 v4, s19, v6
	v_cmpx_ne_u64_e32 0, v[3:4]
	s_xor_b32 s1, exec_lo, s0
	s_cbranch_execz .LBB0_4
; %bb.3:                                ;   in Loop: Header=BB0_2 Depth=1
	v_cvt_f32_u32_e32 v4, s18
	v_cvt_f32_u32_e32 v7, s19
	s_sub_u32 s0, 0, s18
	s_subb_u32 s20, 0, s19
	v_fmac_f32_e32 v4, 0x4f800000, v7
	v_rcp_f32_e32 v4, v4
	v_mul_f32_e32 v4, 0x5f7ffffc, v4
	v_mul_f32_e32 v7, 0x2f800000, v4
	v_trunc_f32_e32 v7, v7
	v_fmac_f32_e32 v4, 0xcf800000, v7
	v_cvt_u32_f32_e32 v7, v7
	v_cvt_u32_f32_e32 v4, v4
	v_mul_lo_u32 v8, s0, v7
	v_mul_hi_u32 v9, s0, v4
	v_mul_lo_u32 v10, s20, v4
	v_add_nc_u32_e32 v8, v9, v8
	v_mul_lo_u32 v9, s0, v4
	v_add_nc_u32_e32 v8, v8, v10
	v_mul_hi_u32 v10, v4, v9
	v_mul_lo_u32 v11, v4, v8
	v_mul_hi_u32 v12, v4, v8
	v_mul_hi_u32 v13, v7, v9
	v_mul_lo_u32 v9, v7, v9
	v_mul_hi_u32 v14, v7, v8
	v_mul_lo_u32 v8, v7, v8
	v_add_co_u32 v10, vcc_lo, v10, v11
	v_add_co_ci_u32_e32 v11, vcc_lo, 0, v12, vcc_lo
	v_add_co_u32 v9, vcc_lo, v10, v9
	v_add_co_ci_u32_e32 v9, vcc_lo, v11, v13, vcc_lo
	v_add_co_ci_u32_e32 v10, vcc_lo, 0, v14, vcc_lo
	v_add_co_u32 v8, vcc_lo, v9, v8
	v_add_co_ci_u32_e32 v9, vcc_lo, 0, v10, vcc_lo
	v_add_co_u32 v4, vcc_lo, v4, v8
	v_add_co_ci_u32_e32 v7, vcc_lo, v7, v9, vcc_lo
	v_mul_hi_u32 v8, s0, v4
	v_mul_lo_u32 v10, s20, v4
	v_mul_lo_u32 v9, s0, v7
	v_add_nc_u32_e32 v8, v8, v9
	v_mul_lo_u32 v9, s0, v4
	v_add_nc_u32_e32 v8, v8, v10
	v_mul_hi_u32 v10, v4, v9
	v_mul_lo_u32 v11, v4, v8
	v_mul_hi_u32 v12, v4, v8
	v_mul_hi_u32 v13, v7, v9
	v_mul_lo_u32 v9, v7, v9
	v_mul_hi_u32 v14, v7, v8
	v_mul_lo_u32 v8, v7, v8
	v_add_co_u32 v10, vcc_lo, v10, v11
	v_add_co_ci_u32_e32 v11, vcc_lo, 0, v12, vcc_lo
	v_add_co_u32 v9, vcc_lo, v10, v9
	v_add_co_ci_u32_e32 v9, vcc_lo, v11, v13, vcc_lo
	v_add_co_ci_u32_e32 v10, vcc_lo, 0, v14, vcc_lo
	v_add_co_u32 v8, vcc_lo, v9, v8
	v_add_co_ci_u32_e32 v9, vcc_lo, 0, v10, vcc_lo
	v_add_co_u32 v4, vcc_lo, v4, v8
	v_add_co_ci_u32_e32 v11, vcc_lo, v7, v9, vcc_lo
	v_mul_hi_u32 v13, v5, v4
	v_mad_u64_u32 v[9:10], null, v6, v4, 0
	v_mad_u64_u32 v[7:8], null, v5, v11, 0
	;; [unrolled: 1-line block ×3, first 2 shown]
	v_add_co_u32 v4, vcc_lo, v13, v7
	v_add_co_ci_u32_e32 v7, vcc_lo, 0, v8, vcc_lo
	v_add_co_u32 v4, vcc_lo, v4, v9
	v_add_co_ci_u32_e32 v4, vcc_lo, v7, v10, vcc_lo
	v_add_co_ci_u32_e32 v7, vcc_lo, 0, v12, vcc_lo
	v_add_co_u32 v4, vcc_lo, v4, v11
	v_add_co_ci_u32_e32 v9, vcc_lo, 0, v7, vcc_lo
	v_mul_lo_u32 v10, s19, v4
	v_mad_u64_u32 v[7:8], null, s18, v4, 0
	v_mul_lo_u32 v11, s18, v9
	v_sub_co_u32 v7, vcc_lo, v5, v7
	v_add3_u32 v8, v8, v11, v10
	v_sub_nc_u32_e32 v10, v6, v8
	v_subrev_co_ci_u32_e64 v10, s0, s19, v10, vcc_lo
	v_add_co_u32 v11, s0, v4, 2
	v_add_co_ci_u32_e64 v12, s0, 0, v9, s0
	v_sub_co_u32 v13, s0, v7, s18
	v_sub_co_ci_u32_e32 v8, vcc_lo, v6, v8, vcc_lo
	v_subrev_co_ci_u32_e64 v10, s0, 0, v10, s0
	v_cmp_le_u32_e32 vcc_lo, s18, v13
	v_cmp_eq_u32_e64 s0, s19, v8
	v_cndmask_b32_e64 v13, 0, -1, vcc_lo
	v_cmp_le_u32_e32 vcc_lo, s19, v10
	v_cndmask_b32_e64 v14, 0, -1, vcc_lo
	v_cmp_le_u32_e32 vcc_lo, s18, v7
	;; [unrolled: 2-line block ×3, first 2 shown]
	v_cndmask_b32_e64 v15, 0, -1, vcc_lo
	v_cmp_eq_u32_e32 vcc_lo, s19, v10
	v_cndmask_b32_e64 v7, v15, v7, s0
	v_cndmask_b32_e32 v10, v14, v13, vcc_lo
	v_add_co_u32 v13, vcc_lo, v4, 1
	v_add_co_ci_u32_e32 v14, vcc_lo, 0, v9, vcc_lo
	v_cmp_ne_u32_e32 vcc_lo, 0, v10
	v_cndmask_b32_e32 v8, v14, v12, vcc_lo
	v_cndmask_b32_e32 v10, v13, v11, vcc_lo
	v_cmp_ne_u32_e32 vcc_lo, 0, v7
	v_cndmask_b32_e32 v8, v9, v8, vcc_lo
	v_cndmask_b32_e32 v7, v4, v10, vcc_lo
.LBB0_4:                                ;   in Loop: Header=BB0_2 Depth=1
	s_andn2_saveexec_b32 s0, s1
	s_cbranch_execz .LBB0_6
; %bb.5:                                ;   in Loop: Header=BB0_2 Depth=1
	v_cvt_f32_u32_e32 v4, s18
	s_sub_i32 s1, 0, s18
	v_rcp_iflag_f32_e32 v4, v4
	v_mul_f32_e32 v4, 0x4f7ffffe, v4
	v_cvt_u32_f32_e32 v4, v4
	v_mul_lo_u32 v7, s1, v4
	v_mul_hi_u32 v7, v4, v7
	v_add_nc_u32_e32 v4, v4, v7
	v_mul_hi_u32 v4, v5, v4
	v_mul_lo_u32 v7, v4, s18
	v_add_nc_u32_e32 v8, 1, v4
	v_sub_nc_u32_e32 v7, v5, v7
	v_subrev_nc_u32_e32 v9, s18, v7
	v_cmp_le_u32_e32 vcc_lo, s18, v7
	v_cndmask_b32_e32 v7, v7, v9, vcc_lo
	v_cndmask_b32_e32 v4, v4, v8, vcc_lo
	v_cmp_le_u32_e32 vcc_lo, s18, v7
	v_add_nc_u32_e32 v8, 1, v4
	v_cndmask_b32_e32 v7, v4, v8, vcc_lo
	v_mov_b32_e32 v8, v3
.LBB0_6:                                ;   in Loop: Header=BB0_2 Depth=1
	s_or_b32 exec_lo, exec_lo, s0
	s_load_dwordx2 s[0:1], s[6:7], 0x0
	v_mul_lo_u32 v4, v8, s18
	v_mul_lo_u32 v11, v7, s19
	v_mad_u64_u32 v[9:10], null, v7, s18, 0
	s_add_u32 s16, s16, 1
	s_addc_u32 s17, s17, 0
	s_add_u32 s6, s6, 8
	s_addc_u32 s7, s7, 0
	;; [unrolled: 2-line block ×3, first 2 shown]
	v_add3_u32 v4, v10, v11, v4
	v_sub_co_u32 v5, vcc_lo, v5, v9
	v_sub_co_ci_u32_e32 v4, vcc_lo, v6, v4, vcc_lo
	s_waitcnt lgkmcnt(0)
	v_mul_lo_u32 v6, s1, v5
	v_mul_lo_u32 v4, s0, v4
	v_mad_u64_u32 v[1:2], null, s0, v5, v[1:2]
	v_cmp_ge_u64_e64 s0, s[16:17], s[10:11]
	s_and_b32 vcc_lo, exec_lo, s0
	v_add3_u32 v2, v6, v2, v4
	s_cbranch_vccnz .LBB0_9
; %bb.7:                                ;   in Loop: Header=BB0_2 Depth=1
	v_mov_b32_e32 v5, v7
	v_mov_b32_e32 v6, v8
	s_branch .LBB0_2
.LBB0_8:
	v_mov_b32_e32 v8, v6
	v_mov_b32_e32 v7, v5
.LBB0_9:
	s_lshl_b64 s[0:1], s[10:11], 3
	v_mul_hi_u32 v5, 0x14e5e0b, v0
	s_add_u32 s0, s12, s0
	s_addc_u32 s1, s13, s1
	s_load_dwordx2 s[0:1], s[0:1], 0x0
	s_load_dwordx2 s[4:5], s[4:5], 0x20
	s_waitcnt lgkmcnt(0)
	v_mul_lo_u32 v3, s0, v8
	v_mul_lo_u32 v4, s1, v7
	v_mad_u64_u32 v[1:2], null, s0, v7, v[1:2]
	v_cmp_gt_u64_e32 vcc_lo, s[4:5], v[7:8]
	v_add3_u32 v2, v4, v2, v3
	v_mul_u32_u24_e32 v3, 0xc4, v5
	v_lshlrev_b64 v[34:35], 4, v[1:2]
	v_sub_nc_u32_e32 v32, v0, v3
	s_and_saveexec_b32 s1, vcc_lo
	s_cbranch_execz .LBB0_13
; %bb.10:
	v_mov_b32_e32 v33, 0
	v_add_co_u32 v0, s0, s2, v34
	v_add_co_ci_u32_e64 v1, s0, s3, v35, s0
	v_lshlrev_b64 v[2:3], 4, v[32:33]
	v_lshl_add_u32 v22, v32, 4, 0
	s_mov_b32 s4, exec_lo
	v_add_co_u32 v2, s0, v0, v2
	v_add_co_ci_u32_e64 v3, s0, v1, v3, s0
	v_add_co_u32 v6, s0, 0x800, v2
	v_add_co_ci_u32_e64 v7, s0, 0, v3, s0
	;; [unrolled: 2-line block ×5, first 2 shown]
	s_clause 0x4
	global_load_dwordx4 v[2:5], v[2:3], off
	global_load_dwordx4 v[6:9], v[6:7], off offset:1088
	global_load_dwordx4 v[10:13], v[10:11], off offset:128
	;; [unrolled: 1-line block ×4, first 2 shown]
	s_waitcnt vmcnt(4)
	ds_write_b128 v22, v[2:5]
	s_waitcnt vmcnt(3)
	ds_write_b128 v22, v[6:9] offset:3136
	s_waitcnt vmcnt(2)
	ds_write_b128 v22, v[10:13] offset:6272
	;; [unrolled: 2-line block ×4, first 2 shown]
	v_cmpx_eq_u32_e32 0xc3, v32
	s_cbranch_execz .LBB0_12
; %bb.11:
	v_add_co_u32 v0, s0, 0x3800, v0
	v_add_co_ci_u32_e64 v1, s0, 0, v1, s0
	v_mov_b32_e32 v32, 0xc3
	global_load_dwordx4 v[0:3], v[0:1], off offset:1344
	s_waitcnt vmcnt(0)
	ds_write_b128 v33, v[0:3] offset:15680
.LBB0_12:
	s_or_b32 exec_lo, exec_lo, s4
.LBB0_13:
	s_or_b32 exec_lo, exec_lo, s1
	v_lshlrev_b32_e32 v0, 4, v32
	s_waitcnt lgkmcnt(0)
	s_barrier
	buffer_gl0_inv
	s_add_u32 s1, s8, 0x3cd0
	v_add_nc_u32_e32 v57, 0, v0
	v_sub_nc_u32_e32 v8, 0, v0
	s_addc_u32 s4, s9, 0
	s_mov_b32 s5, exec_lo
	ds_read_b64 v[4:5], v57
	ds_read_b64 v[6:7], v8 offset:15680
	s_waitcnt lgkmcnt(0)
	v_add_f64 v[0:1], v[4:5], v[6:7]
	v_add_f64 v[2:3], v[4:5], -v[6:7]
	v_cmpx_ne_u32_e32 0, v32
	s_xor_b32 s5, exec_lo, s5
	s_cbranch_execz .LBB0_15
; %bb.14:
	v_mov_b32_e32 v33, 0
	v_add_f64 v[13:14], v[4:5], v[6:7]
	v_add_f64 v[15:16], v[4:5], -v[6:7]
	v_lshlrev_b64 v[0:1], 4, v[32:33]
	v_add_co_u32 v0, s0, s1, v0
	v_add_co_ci_u32_e64 v1, s0, s4, v1, s0
	global_load_dwordx4 v[9:12], v[0:1], off
	ds_read_b64 v[0:1], v8 offset:15688
	ds_read_b64 v[2:3], v57 offset:8
	s_waitcnt lgkmcnt(0)
	v_add_f64 v[4:5], v[0:1], v[2:3]
	v_add_f64 v[0:1], v[2:3], -v[0:1]
	s_waitcnt vmcnt(0)
	v_fma_f64 v[2:3], v[15:16], v[11:12], v[13:14]
	v_fma_f64 v[6:7], -v[15:16], v[11:12], v[13:14]
	v_fma_f64 v[13:14], v[4:5], v[11:12], -v[0:1]
	v_fma_f64 v[11:12], v[4:5], v[11:12], v[0:1]
	v_fma_f64 v[0:1], -v[4:5], v[9:10], v[2:3]
	v_fma_f64 v[4:5], v[4:5], v[9:10], v[6:7]
	v_fma_f64 v[6:7], v[15:16], v[9:10], v[13:14]
	;; [unrolled: 1-line block ×3, first 2 shown]
	ds_write_b128 v8, v[4:7] offset:15680
.LBB0_15:
	s_andn2_saveexec_b32 s0, s5
	s_cbranch_execz .LBB0_17
; %bb.16:
	v_mov_b32_e32 v9, 0
	ds_read_b128 v[4:7], v9 offset:7840
	s_waitcnt lgkmcnt(0)
	v_add_f64 v[4:5], v[4:5], v[4:5]
	v_mul_f64 v[6:7], v[6:7], -2.0
	ds_write_b128 v9, v[4:7] offset:7840
.LBB0_17:
	s_or_b32 exec_lo, exec_lo, s0
	v_add_nc_u32_e32 v36, 0xc4, v32
	v_mov_b32_e32 v37, 0
	ds_write_b128 v57, v[0:3]
	s_mov_b32 s5, exec_lo
	v_lshlrev_b64 v[4:5], 4, v[36:37]
	v_add_co_u32 v4, s0, s1, v4
	v_add_co_ci_u32_e64 v5, s0, s4, v5, s0
	global_load_dwordx4 v[4:7], v[4:5], off
	ds_read_b128 v[0:3], v57 offset:3136
	ds_read_b128 v[9:12], v8 offset:12544
	s_waitcnt lgkmcnt(0)
	v_add_f64 v[13:14], v[0:1], v[9:10]
	v_add_f64 v[15:16], v[11:12], v[2:3]
	v_add_f64 v[17:18], v[0:1], -v[9:10]
	v_add_f64 v[0:1], v[2:3], -v[11:12]
	s_waitcnt vmcnt(0)
	v_fma_f64 v[2:3], v[17:18], v[6:7], v[13:14]
	v_fma_f64 v[9:10], v[15:16], v[6:7], v[0:1]
	v_fma_f64 v[11:12], -v[17:18], v[6:7], v[13:14]
	v_fma_f64 v[6:7], v[15:16], v[6:7], -v[0:1]
	v_fma_f64 v[0:1], -v[15:16], v[4:5], v[2:3]
	v_fma_f64 v[2:3], v[17:18], v[4:5], v[9:10]
	v_fma_f64 v[9:10], v[15:16], v[4:5], v[11:12]
	;; [unrolled: 1-line block ×3, first 2 shown]
	ds_write_b128 v57, v[0:3] offset:3136
	ds_write_b128 v8, v[9:12] offset:12544
	v_cmpx_gt_u32_e32 0x62, v32
	s_cbranch_execz .LBB0_19
; %bb.18:
	v_add_nc_u32_e32 v0, 0x188, v32
	v_mov_b32_e32 v1, v37
	v_lshlrev_b64 v[0:1], 4, v[0:1]
	v_add_co_u32 v0, s0, s1, v0
	v_add_co_ci_u32_e64 v1, s0, s4, v1, s0
	global_load_dwordx4 v[0:3], v[0:1], off
	ds_read_b128 v[4:7], v57 offset:6272
	ds_read_b128 v[9:12], v8 offset:9408
	s_waitcnt lgkmcnt(0)
	v_add_f64 v[13:14], v[4:5], v[9:10]
	v_add_f64 v[15:16], v[11:12], v[6:7]
	v_add_f64 v[17:18], v[4:5], -v[9:10]
	v_add_f64 v[4:5], v[6:7], -v[11:12]
	s_waitcnt vmcnt(0)
	v_fma_f64 v[6:7], v[17:18], v[2:3], v[13:14]
	v_fma_f64 v[9:10], v[15:16], v[2:3], v[4:5]
	v_fma_f64 v[11:12], -v[17:18], v[2:3], v[13:14]
	v_fma_f64 v[13:14], v[15:16], v[2:3], -v[4:5]
	v_fma_f64 v[2:3], -v[15:16], v[0:1], v[6:7]
	v_fma_f64 v[4:5], v[17:18], v[0:1], v[9:10]
	v_fma_f64 v[9:10], v[15:16], v[0:1], v[11:12]
	;; [unrolled: 1-line block ×3, first 2 shown]
	ds_write_b128 v57, v[2:5] offset:6272
	ds_write_b128 v8, v[9:12] offset:9408
.LBB0_19:
	s_or_b32 exec_lo, exec_lo, s5
	s_waitcnt lgkmcnt(0)
	s_barrier
	buffer_gl0_inv
	s_barrier
	buffer_gl0_inv
	ds_read_b128 v[0:3], v57 offset:2240
	ds_read_b128 v[4:7], v57 offset:13440
	;; [unrolled: 1-line block ×6, first 2 shown]
	s_mov_b32 s4, 0xe976ee23
	s_mov_b32 s5, 0xbfe11646
	;; [unrolled: 1-line block ×8, first 2 shown]
	s_waitcnt lgkmcnt(4)
	v_add_f64 v[24:25], v[0:1], v[4:5]
	v_add_f64 v[26:27], v[2:3], v[6:7]
	s_waitcnt lgkmcnt(2)
	v_add_f64 v[28:29], v[12:13], v[8:9]
	v_add_f64 v[30:31], v[14:15], v[10:11]
	v_add_f64 v[8:9], v[12:13], -v[8:9]
	v_add_f64 v[10:11], v[14:15], -v[10:11]
	s_waitcnt lgkmcnt(0)
	v_add_f64 v[37:38], v[20:21], v[16:17]
	v_add_f64 v[12:13], v[16:17], -v[20:21]
	v_add_f64 v[16:17], v[18:19], -v[22:23]
	v_add_f64 v[39:40], v[22:23], v[18:19]
	v_add_f64 v[4:5], v[0:1], -v[4:5]
	v_add_f64 v[6:7], v[2:3], -v[6:7]
	v_add_f64 v[0:1], v[28:29], v[24:25]
	v_add_f64 v[2:3], v[30:31], v[26:27]
	v_add_f64 v[14:15], v[28:29], -v[24:25]
	v_add_f64 v[18:19], v[24:25], -v[37:38]
	;; [unrolled: 1-line block ×7, first 2 shown]
	v_add_f64 v[51:52], v[12:13], v[8:9]
	v_add_f64 v[55:56], v[16:17], v[10:11]
	v_add_f64 v[58:59], v[4:5], -v[12:13]
	v_add_f64 v[60:61], v[6:7], -v[16:17]
	;; [unrolled: 1-line block ×4, first 2 shown]
	v_add_f64 v[47:48], v[37:38], v[0:1]
	v_add_f64 v[49:50], v[39:40], v[2:3]
	ds_read_b128 v[0:3], v57
	s_waitcnt lgkmcnt(0)
	v_mul_f64 v[62:63], v[18:19], s[0:1]
	v_mul_f64 v[16:17], v[20:21], s[4:5]
	;; [unrolled: 1-line block ×3, first 2 shown]
	v_add_f64 v[22:23], v[30:31], -v[26:27]
	v_mul_f64 v[26:27], v[41:42], s[0:1]
	v_mul_f64 v[20:21], v[43:44], s[6:7]
	;; [unrolled: 1-line block ×3, first 2 shown]
	s_mov_b32 s4, 0x36b3c0b5
	s_mov_b32 s0, 0xaaaaaaaa
	;; [unrolled: 1-line block ×6, first 2 shown]
	v_add_f64 v[53:54], v[51:52], v[4:5]
	v_add_f64 v[55:56], v[55:56], v[6:7]
	s_barrier
	buffer_gl0_inv
	v_add_f64 v[8:9], v[0:1], v[47:48]
	v_add_f64 v[10:11], v[2:3], v[49:50]
	v_fma_f64 v[0:1], v[14:15], s[6:7], -v[62:63]
	v_fma_f64 v[2:3], v[58:59], s[10:11], v[16:17]
	v_fma_f64 v[4:5], v[60:61], s[10:11], v[12:13]
	s_mov_b32 s11, 0xbfd5d0dc
	v_fma_f64 v[6:7], v[22:23], s[6:7], -v[26:27]
	v_fma_f64 v[37:38], v[58:59], s[10:11], -v[20:21]
	;; [unrolled: 1-line block ×3, first 2 shown]
	v_fma_f64 v[43:44], v[24:25], s[4:5], v[62:63]
	v_fma_f64 v[58:59], v[28:29], s[4:5], v[26:27]
	s_mov_b32 s10, 0x37c3f68c
	s_mov_b32 s11, 0x3fdc38aa
	v_fma_f64 v[41:42], v[47:48], s[0:1], v[8:9]
	v_fma_f64 v[49:50], v[49:50], s[0:1], v[10:11]
	v_cmp_gt_u32_e64 s0, 0x8c, v32
	v_fma_f64 v[30:31], v[53:54], s[10:11], v[2:3]
	v_fma_f64 v[26:27], v[55:56], s[10:11], v[4:5]
	;; [unrolled: 1-line block ×4, first 2 shown]
	v_add_f64 v[45:46], v[0:1], v[41:42]
	v_add_f64 v[51:52], v[6:7], v[49:50]
	;; [unrolled: 1-line block ×4, first 2 shown]
	v_add_f64 v[0:1], v[45:46], -v[39:40]
	v_add_f64 v[2:3], v[47:48], v[51:52]
	v_add_f64 v[4:5], v[37:38], -v[26:27]
	v_add_f64 v[6:7], v[30:31], v[43:44]
	s_and_saveexec_b32 s1, s0
	s_cbranch_execz .LBB0_21
; %bb.20:
	s_mov_b32 s7, 0x3fe77f67
	v_mul_f64 v[28:29], v[28:29], s[4:5]
	v_mul_f64 v[22:23], v[22:23], s[6:7]
	;; [unrolled: 1-line block ×6, first 2 shown]
	v_add_f64 v[16:17], v[20:21], -v[16:17]
	v_add_f64 v[12:13], v[18:19], -v[12:13]
	;; [unrolled: 1-line block ×5, first 2 shown]
	v_add_f64 v[24:25], v[53:54], v[16:17]
	v_add_f64 v[28:29], v[55:56], v[12:13]
	;; [unrolled: 1-line block ×6, first 2 shown]
	v_add_f64 v[14:15], v[51:52], -v[47:48]
	v_add_f64 v[22:23], v[20:21], -v[24:25]
	v_add_f64 v[26:27], v[24:25], v[20:21]
	v_add_f64 v[24:25], v[41:42], -v[28:29]
	v_add_f64 v[20:21], v[41:42], v[28:29]
	v_mad_u32_u24 v28, 0x60, v32, v57
	ds_write_b128 v28, v[8:11]
	ds_write_b128 v28, v[0:3] offset:80
	ds_write_b128 v28, v[16:19] offset:16
	;; [unrolled: 1-line block ×6, first 2 shown]
.LBB0_21:
	s_or_b32 exec_lo, exec_lo, s1
	v_and_b32_e32 v28, 0xff, v32
	v_mov_b32_e32 v29, 6
	s_waitcnt lgkmcnt(0)
	s_barrier
	buffer_gl0_inv
	v_mul_lo_u16 v8, v28, 37
	s_mov_b32 s4, 0x134454ff
	s_mov_b32 s5, 0x3fee6f0e
	;; [unrolled: 1-line block ×4, first 2 shown]
	v_lshrrev_b16 v8, 8, v8
	v_sub_nc_u16 v9, v32, v8
	v_lshrrev_b16 v9, 1, v9
	v_and_b32_e32 v9, 0x7f, v9
	v_add_nc_u16 v8, v9, v8
	v_lshrrev_b16 v33, 2, v8
	v_mul_lo_u16 v8, v33, 7
	v_sub_nc_u16 v68, v32, v8
	v_lshlrev_b32_sdwa v20, v29, v68 dst_sel:DWORD dst_unused:UNUSED_PAD src0_sel:DWORD src1_sel:BYTE_0
	s_clause 0x3
	global_load_dwordx4 v[8:11], v20, s[8:9]
	global_load_dwordx4 v[12:15], v20, s[8:9] offset:16
	global_load_dwordx4 v[16:19], v20, s[8:9] offset:32
	;; [unrolled: 1-line block ×3, first 2 shown]
	ds_read_b128 v[24:27], v57 offset:3136
	ds_read_b128 v[37:40], v57 offset:6272
	;; [unrolled: 1-line block ×4, first 2 shown]
	ds_read_b128 v[49:52], v57
	s_waitcnt vmcnt(0) lgkmcnt(0)
	s_barrier
	buffer_gl0_inv
	v_mul_f64 v[30:31], v[26:27], v[10:11]
	v_mul_f64 v[53:54], v[39:40], v[14:15]
	;; [unrolled: 1-line block ×8, first 2 shown]
	v_fma_f64 v[24:25], v[24:25], v[8:9], -v[30:31]
	v_fma_f64 v[30:31], v[37:38], v[12:13], -v[53:54]
	;; [unrolled: 1-line block ×3, first 2 shown]
	v_fma_f64 v[8:9], v[26:27], v[8:9], v[10:11]
	v_fma_f64 v[10:11], v[45:46], v[20:21], -v[58:59]
	v_fma_f64 v[12:13], v[39:40], v[12:13], v[14:15]
	v_fma_f64 v[14:15], v[43:44], v[16:17], v[18:19]
	;; [unrolled: 1-line block ×3, first 2 shown]
	v_add_f64 v[39:40], v[49:50], v[24:25]
	v_add_f64 v[18:19], v[30:31], v[37:38]
	;; [unrolled: 1-line block ×4, first 2 shown]
	v_add_f64 v[47:48], v[24:25], -v[10:11]
	v_add_f64 v[22:23], v[12:13], v[14:15]
	v_add_f64 v[26:27], v[8:9], v[16:17]
	v_add_f64 v[41:42], v[8:9], -v[16:17]
	v_add_f64 v[45:46], v[12:13], -v[14:15]
	v_add_f64 v[53:54], v[10:11], -v[37:38]
	v_add_f64 v[55:56], v[37:38], -v[10:11]
	v_add_f64 v[58:59], v[8:9], -v[12:13]
	v_add_f64 v[60:61], v[16:17], -v[14:15]
	v_add_f64 v[8:9], v[12:13], -v[8:9]
	v_add_f64 v[62:63], v[14:15], -v[16:17]
	v_fma_f64 v[18:19], v[18:19], -0.5, v[49:50]
	v_add_f64 v[12:13], v[43:44], v[12:13]
	v_fma_f64 v[20:21], v[20:21], -0.5, v[49:50]
	v_add_f64 v[49:50], v[30:31], -v[37:38]
	v_fma_f64 v[22:23], v[22:23], -0.5, v[51:52]
	v_fma_f64 v[26:27], v[26:27], -0.5, v[51:52]
	v_add_f64 v[51:52], v[24:25], -v[30:31]
	v_add_f64 v[24:25], v[30:31], -v[24:25]
	v_add_f64 v[30:31], v[39:40], v[30:31]
	v_fma_f64 v[39:40], v[41:42], s[4:5], v[18:19]
	v_fma_f64 v[18:19], v[41:42], s[6:7], v[18:19]
	;; [unrolled: 1-line block ×8, first 2 shown]
	s_mov_b32 s4, 0x4755a5e
	s_mov_b32 s5, 0x3fe2cf23
	;; [unrolled: 1-line block ×4, first 2 shown]
	v_add_f64 v[51:52], v[51:52], v[53:54]
	v_add_f64 v[53:54], v[24:25], v[55:56]
	;; [unrolled: 1-line block ×6, first 2 shown]
	v_fma_f64 v[14:15], v[45:46], s[4:5], v[39:40]
	v_fma_f64 v[18:19], v[45:46], s[6:7], v[18:19]
	;; [unrolled: 1-line block ×8, first 2 shown]
	s_mov_b32 s4, 0x372fe950
	s_mov_b32 s5, 0x3fd3c6ef
	v_add_f64 v[8:9], v[8:9], v[10:11]
	v_add_f64 v[10:11], v[12:13], v[16:17]
	v_fma_f64 v[12:13], v[51:52], s[4:5], v[14:15]
	v_fma_f64 v[24:25], v[51:52], s[4:5], v[18:19]
	;; [unrolled: 1-line block ×8, first 2 shown]
	v_mov_b32_e32 v30, 0x230
	v_mov_b32_e32 v31, 4
	v_mul_u32_u24_sdwa v30, v33, v30 dst_sel:DWORD dst_unused:UNUSED_PAD src0_sel:WORD_0 src1_sel:DWORD
	v_lshlrev_b32_sdwa v31, v31, v68 dst_sel:DWORD dst_unused:UNUSED_PAD src0_sel:DWORD src1_sel:BYTE_0
	v_add3_u32 v30, 0, v30, v31
	ds_write_b128 v30, v[8:11]
	ds_write_b128 v30, v[12:15] offset:112
	ds_write_b128 v30, v[16:19] offset:224
	;; [unrolled: 1-line block ×4, first 2 shown]
	s_waitcnt lgkmcnt(0)
	s_barrier
	buffer_gl0_inv
	s_and_saveexec_b32 s1, s0
	s_cbranch_execz .LBB0_23
; %bb.22:
	ds_read_b128 v[8:11], v57
	ds_read_b128 v[12:15], v57 offset:2240
	ds_read_b128 v[16:19], v57 offset:4480
	;; [unrolled: 1-line block ×6, first 2 shown]
.LBB0_23:
	s_or_b32 exec_lo, exec_lo, s1
	v_mul_lo_u16 v28, 0xeb, v28
	s_mov_b32 s6, 0xe976ee23
	s_mov_b32 s4, 0x36b3c0b5
	;; [unrolled: 1-line block ×4, first 2 shown]
	v_lshrrev_b16 v33, 13, v28
	s_mov_b32 s10, 0x37e14327
	s_mov_b32 s11, 0x3fe948f6
	;; [unrolled: 1-line block ×4, first 2 shown]
	v_mul_lo_u16 v28, v33, 35
	s_mov_b32 s15, 0x3fd5d0dc
	s_mov_b32 s14, 0xb247c609
	v_sub_nc_u16 v45, v32, v28
	v_mul_u32_u24_sdwa v28, v45, v29 dst_sel:DWORD dst_unused:UNUSED_PAD src0_sel:BYTE_0 src1_sel:DWORD
	v_lshlrev_b32_e32 v54, 4, v28
	s_clause 0x5
	global_load_dwordx4 v[28:31], v54, s[8:9] offset:448
	global_load_dwordx4 v[37:40], v54, s[8:9] offset:464
	;; [unrolled: 1-line block ×6, first 2 shown]
	s_waitcnt vmcnt(0) lgkmcnt(0)
	s_barrier
	buffer_gl0_inv
	v_mul_f64 v[54:55], v[14:15], v[30:31]
	v_mul_f64 v[30:31], v[12:13], v[30:31]
	;; [unrolled: 1-line block ×10, first 2 shown]
	v_fma_f64 v[12:13], v[12:13], v[28:29], -v[54:55]
	v_fma_f64 v[14:15], v[14:15], v[28:29], v[30:31]
	v_mul_f64 v[28:29], v[26:27], v[60:61]
	v_mul_f64 v[30:31], v[24:25], v[60:61]
	v_fma_f64 v[16:17], v[16:17], v[37:38], -v[62:63]
	v_fma_f64 v[18:19], v[18:19], v[37:38], v[39:40]
	v_fma_f64 v[4:5], v[4:5], v[41:42], -v[64:65]
	v_fma_f64 v[6:7], v[6:7], v[41:42], v[43:44]
	;; [unrolled: 2-line block ×5, first 2 shown]
	v_add_f64 v[28:29], v[12:13], v[4:5]
	v_add_f64 v[30:31], v[14:15], v[6:7]
	;; [unrolled: 1-line block ×4, first 2 shown]
	v_add_f64 v[0:1], v[16:17], -v[0:1]
	v_add_f64 v[2:3], v[18:19], -v[2:3]
	v_add_f64 v[4:5], v[12:13], -v[4:5]
	v_add_f64 v[6:7], v[14:15], -v[6:7]
	v_add_f64 v[16:17], v[20:21], v[24:25]
	v_add_f64 v[18:19], v[22:23], v[26:27]
	v_add_f64 v[20:21], v[24:25], -v[20:21]
	v_add_f64 v[22:23], v[26:27], -v[22:23]
	v_add_f64 v[12:13], v[37:38], v[28:29]
	v_add_f64 v[14:15], v[39:40], v[30:31]
	v_add_f64 v[46:47], v[0:1], -v[4:5]
	v_add_f64 v[48:49], v[2:3], -v[6:7]
	;; [unrolled: 1-line block ×6, first 2 shown]
	v_add_f64 v[0:1], v[20:21], v[0:1]
	v_add_f64 v[2:3], v[22:23], v[2:3]
	;; [unrolled: 1-line block ×4, first 2 shown]
	v_add_f64 v[16:17], v[28:29], -v[16:17]
	v_add_f64 v[18:19], v[30:31], -v[18:19]
	;; [unrolled: 1-line block ×6, first 2 shown]
	v_mul_f64 v[37:38], v[24:25], s[4:5]
	v_mul_f64 v[39:40], v[26:27], s[4:5]
	;; [unrolled: 1-line block ×4, first 2 shown]
	s_mov_b32 s6, 0x429ad128
	s_mov_b32 s7, 0x3febfeb5
	v_add_f64 v[12:13], v[8:9], v[50:51]
	v_mul_f64 v[54:55], v[46:47], s[6:7]
	v_mul_f64 v[58:59], v[48:49], s[6:7]
	v_add_f64 v[14:15], v[10:11], v[52:53]
	v_mul_f64 v[8:9], v[16:17], s[10:11]
	v_mul_f64 v[10:11], v[18:19], s[10:11]
	s_mov_b32 s10, 0xaaaaaaaa
	s_mov_b32 s11, 0xbff2aaaa
	v_add_f64 v[0:1], v[0:1], v[4:5]
	v_add_f64 v[2:3], v[2:3], v[6:7]
	v_fma_f64 v[4:5], v[28:29], s[12:13], -v[37:38]
	v_fma_f64 v[6:7], v[30:31], s[12:13], -v[39:40]
	s_mov_b32 s13, 0xbfe77f67
	v_fma_f64 v[16:17], v[20:21], s[14:15], v[41:42]
	v_fma_f64 v[18:19], v[22:23], s[14:15], v[43:44]
	s_mov_b32 s15, 0xbfd5d0dc
	v_fma_f64 v[37:38], v[46:47], s[6:7], -v[41:42]
	v_fma_f64 v[41:42], v[48:49], s[6:7], -v[43:44]
	;; [unrolled: 1-line block ×4, first 2 shown]
	v_fma_f64 v[46:47], v[50:51], s[10:11], v[12:13]
	v_fma_f64 v[48:49], v[52:53], s[10:11], v[14:15]
	v_fma_f64 v[28:29], v[28:29], s[12:13], -v[8:9]
	v_fma_f64 v[50:51], v[30:31], s[12:13], -v[10:11]
	v_fma_f64 v[8:9], v[24:25], s[4:5], v[8:9]
	v_fma_f64 v[10:11], v[26:27], s[4:5], v[10:11]
	s_mov_b32 s4, 0x37c3f68c
	s_mov_b32 s5, 0x3fdc38aa
	v_fma_f64 v[20:21], v[0:1], s[4:5], v[16:17]
	v_fma_f64 v[16:17], v[2:3], s[4:5], v[18:19]
	;; [unrolled: 1-line block ×6, first 2 shown]
	v_add_f64 v[22:23], v[4:5], v[46:47]
	v_add_f64 v[43:44], v[6:7], v[48:49]
	v_add_f64 v[26:27], v[28:29], v[46:47]
	v_add_f64 v[41:42], v[50:51], v[48:49]
	v_add_f64 v[28:29], v[8:9], v[46:47]
	v_add_f64 v[37:38], v[10:11], v[48:49]
	v_add_f64 v[0:1], v[18:19], v[22:23]
	v_add_f64 v[2:3], v[43:44], -v[39:40]
	v_add_f64 v[4:5], v[26:27], -v[24:25]
	v_add_f64 v[6:7], v[30:31], v[41:42]
	v_add_f64 v[8:9], v[28:29], -v[16:17]
	v_add_f64 v[10:11], v[20:21], v[37:38]
	s_and_saveexec_b32 s1, s0
	s_cbranch_execz .LBB0_25
; %bb.24:
	v_add_f64 v[39:40], v[39:40], v[43:44]
	v_add_f64 v[30:31], v[41:42], -v[30:31]
	v_add_f64 v[43:44], v[37:38], -v[20:21]
	v_add_f64 v[41:42], v[16:17], v[28:29]
	v_add_f64 v[28:29], v[24:25], v[26:27]
	v_add_f64 v[37:38], v[22:23], -v[18:19]
	v_mov_b32_e32 v16, 0xf50
	v_mov_b32_e32 v17, 4
	v_mul_u32_u24_sdwa v16, v33, v16 dst_sel:DWORD dst_unused:UNUSED_PAD src0_sel:WORD_0 src1_sel:DWORD
	v_lshlrev_b32_sdwa v17, v17, v45 dst_sel:DWORD dst_unused:UNUSED_PAD src0_sel:DWORD src1_sel:BYTE_0
	v_add3_u32 v16, 0, v16, v17
	ds_write_b128 v16, v[12:15]
	ds_write_b128 v16, v[0:3] offset:2240
	ds_write_b128 v16, v[4:7] offset:2800
	;; [unrolled: 1-line block ×6, first 2 shown]
.LBB0_25:
	s_or_b32 exec_lo, exec_lo, s1
	s_waitcnt lgkmcnt(0)
	s_barrier
	buffer_gl0_inv
	ds_read_b128 v[16:19], v57
	ds_read_b128 v[28:31], v57 offset:3920
	ds_read_b128 v[24:27], v57 offset:7840
	ds_read_b128 v[20:23], v57 offset:11760
	v_cmp_gt_u32_e64 s0, 49, v32
                                        ; implicit-def: $vgpr14_vgpr15
	s_and_saveexec_b32 s1, s0
	s_cbranch_execz .LBB0_27
; %bb.26:
	ds_read_b128 v[0:3], v57 offset:3136
	ds_read_b128 v[4:7], v57 offset:7056
	;; [unrolled: 1-line block ×4, first 2 shown]
.LBB0_27:
	s_or_b32 exec_lo, exec_lo, s1
	v_mul_u32_u24_e32 v33, 3, v32
	v_lshlrev_b32_e32 v33, 4, v33
	v_add_co_u32 v33, s1, s8, v33
	v_add_co_ci_u32_e64 v39, null, s9, 0, s1
	v_add_co_u32 v37, s1, 0x800, v33
	v_add_co_ci_u32_e64 v38, s1, 0, v39, s1
	v_add_co_u32 v45, s1, 0xee0, v33
	v_add_co_ci_u32_e64 v46, s1, 0, v39, s1
	s_clause 0x2
	global_load_dwordx4 v[37:40], v[37:38], off offset:1760
	global_load_dwordx4 v[41:44], v[45:46], off offset:16
	;; [unrolled: 1-line block ×3, first 2 shown]
	s_waitcnt vmcnt(0) lgkmcnt(0)
	s_barrier
	buffer_gl0_inv
	v_mul_f64 v[49:50], v[30:31], v[39:40]
	v_mul_f64 v[39:40], v[28:29], v[39:40]
	;; [unrolled: 1-line block ×6, first 2 shown]
	v_fma_f64 v[28:29], v[28:29], v[37:38], -v[49:50]
	v_fma_f64 v[30:31], v[30:31], v[37:38], v[39:40]
	v_fma_f64 v[24:25], v[24:25], v[41:42], -v[51:52]
	v_fma_f64 v[26:27], v[26:27], v[41:42], v[43:44]
	;; [unrolled: 2-line block ×3, first 2 shown]
	v_add_f64 v[37:38], v[16:17], -v[24:25]
	v_add_f64 v[39:40], v[18:19], -v[26:27]
	v_add_f64 v[20:21], v[28:29], -v[20:21]
	v_add_f64 v[22:23], v[30:31], -v[22:23]
	v_fma_f64 v[16:17], v[16:17], 2.0, -v[37:38]
	v_fma_f64 v[41:42], v[18:19], 2.0, -v[39:40]
	;; [unrolled: 1-line block ×4, first 2 shown]
	v_add_f64 v[18:19], v[37:38], -v[22:23]
	v_add_f64 v[20:21], v[39:40], v[20:21]
	v_add_f64 v[22:23], v[16:17], -v[24:25]
	v_add_f64 v[24:25], v[41:42], -v[26:27]
	v_fma_f64 v[26:27], v[37:38], 2.0, -v[18:19]
	v_fma_f64 v[28:29], v[39:40], 2.0, -v[20:21]
	;; [unrolled: 1-line block ×4, first 2 shown]
	v_mov_b32_e32 v17, 0
	ds_write_b128 v57, v[26:29] offset:3920
	ds_write_b128 v57, v[22:25] offset:7840
	ds_write_b128 v57, v[37:40]
	ds_write_b128 v57, v[18:21] offset:11760
	s_and_saveexec_b32 s1, s0
	s_cbranch_execz .LBB0_29
; %bb.28:
	v_subrev_nc_u32_e32 v16, 49, v32
	v_cndmask_b32_e64 v16, v16, v36, s0
	v_mul_i32_i24_e32 v16, 3, v16
	v_lshlrev_b64 v[16:17], 4, v[16:17]
	v_add_co_u32 v16, s0, s8, v16
	v_add_co_ci_u32_e64 v17, s0, s9, v17, s0
	v_add_co_u32 v24, s0, 0xee0, v16
	v_add_co_ci_u32_e64 v25, s0, 0, v17, s0
	;; [unrolled: 2-line block ×3, first 2 shown]
	s_clause 0x2
	global_load_dwordx4 v[16:19], v[24:25], off offset:16
	global_load_dwordx4 v[20:23], v[20:21], off offset:1760
	;; [unrolled: 1-line block ×3, first 2 shown]
	s_waitcnt vmcnt(2)
	v_mul_f64 v[28:29], v[8:9], v[18:19]
	s_waitcnt vmcnt(1)
	v_mul_f64 v[30:31], v[6:7], v[22:23]
	v_mul_f64 v[22:23], v[4:5], v[22:23]
	s_waitcnt vmcnt(0)
	v_mul_f64 v[36:37], v[12:13], v[26:27]
	v_mul_f64 v[18:19], v[10:11], v[18:19]
	;; [unrolled: 1-line block ×3, first 2 shown]
	v_fma_f64 v[10:11], v[10:11], v[16:17], v[28:29]
	v_fma_f64 v[4:5], v[4:5], v[20:21], -v[30:31]
	v_fma_f64 v[6:7], v[6:7], v[20:21], v[22:23]
	v_fma_f64 v[14:15], v[14:15], v[24:25], v[36:37]
	v_fma_f64 v[8:9], v[8:9], v[16:17], -v[18:19]
	v_fma_f64 v[12:13], v[12:13], v[24:25], -v[26:27]
	v_add_f64 v[10:11], v[2:3], -v[10:11]
	v_add_f64 v[14:15], v[6:7], -v[14:15]
	;; [unrolled: 1-line block ×4, first 2 shown]
	v_fma_f64 v[16:17], v[2:3], 2.0, -v[10:11]
	v_fma_f64 v[6:7], v[6:7], 2.0, -v[14:15]
	;; [unrolled: 1-line block ×4, first 2 shown]
	v_add_f64 v[2:3], v[10:11], v[12:13]
	v_add_f64 v[0:1], v[8:9], -v[14:15]
	v_add_f64 v[6:7], v[16:17], -v[6:7]
	;; [unrolled: 1-line block ×3, first 2 shown]
	v_fma_f64 v[10:11], v[10:11], 2.0, -v[2:3]
	v_fma_f64 v[8:9], v[8:9], 2.0, -v[0:1]
	;; [unrolled: 1-line block ×4, first 2 shown]
	ds_write_b128 v57, v[8:11] offset:7056
	ds_write_b128 v57, v[4:7] offset:10976
	;; [unrolled: 1-line block ×4, first 2 shown]
.LBB0_29:
	s_or_b32 exec_lo, exec_lo, s1
	s_waitcnt lgkmcnt(0)
	s_barrier
	buffer_gl0_inv
	s_and_saveexec_b32 s0, vcc_lo
	s_cbranch_execz .LBB0_31
; %bb.30:
	v_mov_b32_e32 v33, 0
	v_add_nc_u32_e32 v2, 0xc4, v32
	v_add_co_u32 v30, vcc_lo, s2, v34
	v_add_co_ci_u32_e32 v31, vcc_lo, s3, v35, vcc_lo
	v_mov_b32_e32 v3, v33
	v_lshlrev_b64 v[0:1], 4, v[32:33]
	v_lshl_add_u32 v16, v32, 4, 0
	v_add_nc_u32_e32 v10, 0x188, v32
	v_mov_b32_e32 v11, v33
	v_lshlrev_b64 v[8:9], 4, v[2:3]
	v_add_nc_u32_e32 v24, 0x24c, v32
	v_add_co_u32 v20, vcc_lo, v30, v0
	v_add_co_ci_u32_e32 v21, vcc_lo, v31, v1, vcc_lo
	v_add_co_u32 v22, vcc_lo, v30, v8
	ds_read_b128 v[0:3], v16
	ds_read_b128 v[4:7], v16 offset:3136
	v_add_co_ci_u32_e32 v23, vcc_lo, v31, v9, vcc_lo
	v_lshlrev_b64 v[26:27], 4, v[10:11]
	ds_read_b128 v[8:11], v16 offset:6272
	ds_read_b128 v[12:15], v16 offset:9408
	ds_read_b128 v[16:19], v16 offset:12544
	v_mov_b32_e32 v25, v33
	v_add_nc_u32_e32 v32, 0x310, v32
	v_add_co_u32 v26, vcc_lo, v30, v26
	v_lshlrev_b64 v[24:25], 4, v[24:25]
	v_lshlrev_b64 v[28:29], 4, v[32:33]
	v_add_co_ci_u32_e32 v27, vcc_lo, v31, v27, vcc_lo
	v_add_co_u32 v24, vcc_lo, v30, v24
	v_add_co_ci_u32_e32 v25, vcc_lo, v31, v25, vcc_lo
	v_add_co_u32 v28, vcc_lo, v30, v28
	v_add_co_ci_u32_e32 v29, vcc_lo, v31, v29, vcc_lo
	s_waitcnt lgkmcnt(4)
	global_store_dwordx4 v[20:21], v[0:3], off
	s_waitcnt lgkmcnt(3)
	global_store_dwordx4 v[22:23], v[4:7], off
	s_waitcnt lgkmcnt(2)
	global_store_dwordx4 v[26:27], v[8:11], off
	s_waitcnt lgkmcnt(1)
	global_store_dwordx4 v[24:25], v[12:15], off
	s_waitcnt lgkmcnt(0)
	global_store_dwordx4 v[28:29], v[16:19], off
.LBB0_31:
	s_endpgm
	.section	.rodata,"a",@progbits
	.p2align	6, 0x0
	.amdhsa_kernel fft_rtc_fwd_len980_factors_7_5_7_4_wgs_196_tpt_196_dp_ip_CI_unitstride_sbrr_C2R_dirReg
		.amdhsa_group_segment_fixed_size 0
		.amdhsa_private_segment_fixed_size 0
		.amdhsa_kernarg_size 88
		.amdhsa_user_sgpr_count 6
		.amdhsa_user_sgpr_private_segment_buffer 1
		.amdhsa_user_sgpr_dispatch_ptr 0
		.amdhsa_user_sgpr_queue_ptr 0
		.amdhsa_user_sgpr_kernarg_segment_ptr 1
		.amdhsa_user_sgpr_dispatch_id 0
		.amdhsa_user_sgpr_flat_scratch_init 0
		.amdhsa_user_sgpr_private_segment_size 0
		.amdhsa_wavefront_size32 1
		.amdhsa_uses_dynamic_stack 0
		.amdhsa_system_sgpr_private_segment_wavefront_offset 0
		.amdhsa_system_sgpr_workgroup_id_x 1
		.amdhsa_system_sgpr_workgroup_id_y 0
		.amdhsa_system_sgpr_workgroup_id_z 0
		.amdhsa_system_sgpr_workgroup_info 0
		.amdhsa_system_vgpr_workitem_id 0
		.amdhsa_next_free_vgpr 70
		.amdhsa_next_free_sgpr 21
		.amdhsa_reserve_vcc 1
		.amdhsa_reserve_flat_scratch 0
		.amdhsa_float_round_mode_32 0
		.amdhsa_float_round_mode_16_64 0
		.amdhsa_float_denorm_mode_32 3
		.amdhsa_float_denorm_mode_16_64 3
		.amdhsa_dx10_clamp 1
		.amdhsa_ieee_mode 1
		.amdhsa_fp16_overflow 0
		.amdhsa_workgroup_processor_mode 1
		.amdhsa_memory_ordered 1
		.amdhsa_forward_progress 0
		.amdhsa_shared_vgpr_count 0
		.amdhsa_exception_fp_ieee_invalid_op 0
		.amdhsa_exception_fp_denorm_src 0
		.amdhsa_exception_fp_ieee_div_zero 0
		.amdhsa_exception_fp_ieee_overflow 0
		.amdhsa_exception_fp_ieee_underflow 0
		.amdhsa_exception_fp_ieee_inexact 0
		.amdhsa_exception_int_div_zero 0
	.end_amdhsa_kernel
	.text
.Lfunc_end0:
	.size	fft_rtc_fwd_len980_factors_7_5_7_4_wgs_196_tpt_196_dp_ip_CI_unitstride_sbrr_C2R_dirReg, .Lfunc_end0-fft_rtc_fwd_len980_factors_7_5_7_4_wgs_196_tpt_196_dp_ip_CI_unitstride_sbrr_C2R_dirReg
                                        ; -- End function
	.section	.AMDGPU.csdata,"",@progbits
; Kernel info:
; codeLenInByte = 6528
; NumSgprs: 23
; NumVgprs: 70
; ScratchSize: 0
; MemoryBound: 0
; FloatMode: 240
; IeeeMode: 1
; LDSByteSize: 0 bytes/workgroup (compile time only)
; SGPRBlocks: 2
; VGPRBlocks: 8
; NumSGPRsForWavesPerEU: 23
; NumVGPRsForWavesPerEU: 70
; Occupancy: 12
; WaveLimiterHint : 1
; COMPUTE_PGM_RSRC2:SCRATCH_EN: 0
; COMPUTE_PGM_RSRC2:USER_SGPR: 6
; COMPUTE_PGM_RSRC2:TRAP_HANDLER: 0
; COMPUTE_PGM_RSRC2:TGID_X_EN: 1
; COMPUTE_PGM_RSRC2:TGID_Y_EN: 0
; COMPUTE_PGM_RSRC2:TGID_Z_EN: 0
; COMPUTE_PGM_RSRC2:TIDIG_COMP_CNT: 0
	.text
	.p2alignl 6, 3214868480
	.fill 48, 4, 3214868480
	.type	__hip_cuid_384f0e9d4d40a26b,@object ; @__hip_cuid_384f0e9d4d40a26b
	.section	.bss,"aw",@nobits
	.globl	__hip_cuid_384f0e9d4d40a26b
__hip_cuid_384f0e9d4d40a26b:
	.byte	0                               ; 0x0
	.size	__hip_cuid_384f0e9d4d40a26b, 1

	.ident	"AMD clang version 19.0.0git (https://github.com/RadeonOpenCompute/llvm-project roc-6.4.0 25133 c7fe45cf4b819c5991fe208aaa96edf142730f1d)"
	.section	".note.GNU-stack","",@progbits
	.addrsig
	.addrsig_sym __hip_cuid_384f0e9d4d40a26b
	.amdgpu_metadata
---
amdhsa.kernels:
  - .args:
      - .actual_access:  read_only
        .address_space:  global
        .offset:         0
        .size:           8
        .value_kind:     global_buffer
      - .offset:         8
        .size:           8
        .value_kind:     by_value
      - .actual_access:  read_only
        .address_space:  global
        .offset:         16
        .size:           8
        .value_kind:     global_buffer
      - .actual_access:  read_only
        .address_space:  global
        .offset:         24
        .size:           8
        .value_kind:     global_buffer
      - .offset:         32
        .size:           8
        .value_kind:     by_value
      - .actual_access:  read_only
        .address_space:  global
        .offset:         40
        .size:           8
        .value_kind:     global_buffer
      - .actual_access:  read_only
        .address_space:  global
        .offset:         48
        .size:           8
        .value_kind:     global_buffer
      - .offset:         56
        .size:           4
        .value_kind:     by_value
      - .actual_access:  read_only
        .address_space:  global
        .offset:         64
        .size:           8
        .value_kind:     global_buffer
      - .actual_access:  read_only
        .address_space:  global
        .offset:         72
        .size:           8
        .value_kind:     global_buffer
      - .address_space:  global
        .offset:         80
        .size:           8
        .value_kind:     global_buffer
    .group_segment_fixed_size: 0
    .kernarg_segment_align: 8
    .kernarg_segment_size: 88
    .language:       OpenCL C
    .language_version:
      - 2
      - 0
    .max_flat_workgroup_size: 196
    .name:           fft_rtc_fwd_len980_factors_7_5_7_4_wgs_196_tpt_196_dp_ip_CI_unitstride_sbrr_C2R_dirReg
    .private_segment_fixed_size: 0
    .sgpr_count:     23
    .sgpr_spill_count: 0
    .symbol:         fft_rtc_fwd_len980_factors_7_5_7_4_wgs_196_tpt_196_dp_ip_CI_unitstride_sbrr_C2R_dirReg.kd
    .uniform_work_group_size: 1
    .uses_dynamic_stack: false
    .vgpr_count:     70
    .vgpr_spill_count: 0
    .wavefront_size: 32
    .workgroup_processor_mode: 1
amdhsa.target:   amdgcn-amd-amdhsa--gfx1030
amdhsa.version:
  - 1
  - 2
...

	.end_amdgpu_metadata
